;; amdgpu-corpus repo=ROCm/rocFFT kind=compiled arch=gfx906 opt=O3
	.text
	.amdgcn_target "amdgcn-amd-amdhsa--gfx906"
	.amdhsa_code_object_version 6
	.protected	fft_rtc_back_len540_factors_3_10_6_3_wgs_216_tpt_54_halfLds_dp_op_CI_CI_sbrr_dirReg ; -- Begin function fft_rtc_back_len540_factors_3_10_6_3_wgs_216_tpt_54_halfLds_dp_op_CI_CI_sbrr_dirReg
	.globl	fft_rtc_back_len540_factors_3_10_6_3_wgs_216_tpt_54_halfLds_dp_op_CI_CI_sbrr_dirReg
	.p2align	8
	.type	fft_rtc_back_len540_factors_3_10_6_3_wgs_216_tpt_54_halfLds_dp_op_CI_CI_sbrr_dirReg,@function
fft_rtc_back_len540_factors_3_10_6_3_wgs_216_tpt_54_halfLds_dp_op_CI_CI_sbrr_dirReg: ; @fft_rtc_back_len540_factors_3_10_6_3_wgs_216_tpt_54_halfLds_dp_op_CI_CI_sbrr_dirReg
; %bb.0:
	s_load_dwordx4 s[16:19], s[4:5], 0x18
	s_load_dwordx4 s[8:11], s[4:5], 0x0
	;; [unrolled: 1-line block ×3, first 2 shown]
	v_mul_u32_u24_e32 v1, 0x4be, v0
	v_lshrrev_b32_e32 v54, 16, v1
	s_waitcnt lgkmcnt(0)
	s_load_dwordx2 s[2:3], s[16:17], 0x0
	s_load_dwordx2 s[20:21], s[18:19], 0x0
	v_cmp_lt_u64_e64 s[0:1], s[10:11], 2
	v_mov_b32_e32 v3, 0
	v_mov_b32_e32 v1, 0
	v_lshl_add_u32 v5, s6, 2, v54
	v_mov_b32_e32 v6, v3
	s_and_b64 vcc, exec, s[0:1]
	v_mov_b32_e32 v2, 0
	s_cbranch_vccnz .LBB0_8
; %bb.1:
	s_load_dwordx2 s[0:1], s[4:5], 0x10
	s_add_u32 s6, s18, 8
	s_addc_u32 s7, s19, 0
	s_add_u32 s22, s16, 8
	v_mov_b32_e32 v1, 0
	s_addc_u32 s23, s17, 0
	v_mov_b32_e32 v2, 0
	s_waitcnt lgkmcnt(0)
	s_add_u32 s24, s0, 8
	v_mov_b32_e32 v51, v2
	s_addc_u32 s25, s1, 0
	s_mov_b64 s[26:27], 1
	v_mov_b32_e32 v50, v1
.LBB0_2:                                ; =>This Inner Loop Header: Depth=1
	s_load_dwordx2 s[28:29], s[24:25], 0x0
                                        ; implicit-def: $vgpr52_vgpr53
	s_waitcnt lgkmcnt(0)
	v_or_b32_e32 v4, s29, v6
	v_cmp_ne_u64_e32 vcc, 0, v[3:4]
	s_and_saveexec_b64 s[0:1], vcc
	s_xor_b64 s[30:31], exec, s[0:1]
	s_cbranch_execz .LBB0_4
; %bb.3:                                ;   in Loop: Header=BB0_2 Depth=1
	v_cvt_f32_u32_e32 v4, s28
	v_cvt_f32_u32_e32 v7, s29
	s_sub_u32 s0, 0, s28
	s_subb_u32 s1, 0, s29
	v_mac_f32_e32 v4, 0x4f800000, v7
	v_rcp_f32_e32 v4, v4
	v_mul_f32_e32 v4, 0x5f7ffffc, v4
	v_mul_f32_e32 v7, 0x2f800000, v4
	v_trunc_f32_e32 v7, v7
	v_mac_f32_e32 v4, 0xcf800000, v7
	v_cvt_u32_f32_e32 v7, v7
	v_cvt_u32_f32_e32 v4, v4
	v_mul_lo_u32 v8, s0, v7
	v_mul_hi_u32 v9, s0, v4
	v_mul_lo_u32 v11, s1, v4
	v_mul_lo_u32 v10, s0, v4
	v_add_u32_e32 v8, v9, v8
	v_add_u32_e32 v8, v8, v11
	v_mul_hi_u32 v9, v4, v10
	v_mul_lo_u32 v11, v4, v8
	v_mul_hi_u32 v13, v4, v8
	v_mul_hi_u32 v12, v7, v10
	v_mul_lo_u32 v10, v7, v10
	v_mul_hi_u32 v14, v7, v8
	v_add_co_u32_e32 v9, vcc, v9, v11
	v_addc_co_u32_e32 v11, vcc, 0, v13, vcc
	v_mul_lo_u32 v8, v7, v8
	v_add_co_u32_e32 v9, vcc, v9, v10
	v_addc_co_u32_e32 v9, vcc, v11, v12, vcc
	v_addc_co_u32_e32 v10, vcc, 0, v14, vcc
	v_add_co_u32_e32 v8, vcc, v9, v8
	v_addc_co_u32_e32 v9, vcc, 0, v10, vcc
	v_add_co_u32_e32 v4, vcc, v4, v8
	v_addc_co_u32_e32 v7, vcc, v7, v9, vcc
	v_mul_lo_u32 v8, s0, v7
	v_mul_hi_u32 v9, s0, v4
	v_mul_lo_u32 v10, s1, v4
	v_mul_lo_u32 v11, s0, v4
	v_add_u32_e32 v8, v9, v8
	v_add_u32_e32 v8, v8, v10
	v_mul_lo_u32 v12, v4, v8
	v_mul_hi_u32 v13, v4, v11
	v_mul_hi_u32 v14, v4, v8
	;; [unrolled: 1-line block ×3, first 2 shown]
	v_mul_lo_u32 v11, v7, v11
	v_mul_hi_u32 v9, v7, v8
	v_add_co_u32_e32 v12, vcc, v13, v12
	v_addc_co_u32_e32 v13, vcc, 0, v14, vcc
	v_mul_lo_u32 v8, v7, v8
	v_add_co_u32_e32 v11, vcc, v12, v11
	v_addc_co_u32_e32 v10, vcc, v13, v10, vcc
	v_addc_co_u32_e32 v9, vcc, 0, v9, vcc
	v_add_co_u32_e32 v8, vcc, v10, v8
	v_addc_co_u32_e32 v9, vcc, 0, v9, vcc
	v_add_co_u32_e32 v4, vcc, v4, v8
	v_addc_co_u32_e32 v9, vcc, v7, v9, vcc
	v_mad_u64_u32 v[7:8], s[0:1], v5, v9, 0
	v_mul_hi_u32 v10, v5, v4
	v_add_co_u32_e32 v11, vcc, v10, v7
	v_addc_co_u32_e32 v12, vcc, 0, v8, vcc
	v_mad_u64_u32 v[7:8], s[0:1], v6, v4, 0
	v_mad_u64_u32 v[9:10], s[0:1], v6, v9, 0
	v_add_co_u32_e32 v4, vcc, v11, v7
	v_addc_co_u32_e32 v4, vcc, v12, v8, vcc
	v_addc_co_u32_e32 v7, vcc, 0, v10, vcc
	v_add_co_u32_e32 v4, vcc, v4, v9
	v_addc_co_u32_e32 v9, vcc, 0, v7, vcc
	v_mul_lo_u32 v10, s29, v4
	v_mul_lo_u32 v11, s28, v9
	v_mad_u64_u32 v[7:8], s[0:1], s28, v4, 0
	v_add3_u32 v8, v8, v11, v10
	v_sub_u32_e32 v10, v6, v8
	v_mov_b32_e32 v11, s29
	v_sub_co_u32_e32 v7, vcc, v5, v7
	v_subb_co_u32_e64 v10, s[0:1], v10, v11, vcc
	v_subrev_co_u32_e64 v11, s[0:1], s28, v7
	v_subbrev_co_u32_e64 v10, s[0:1], 0, v10, s[0:1]
	v_cmp_le_u32_e64 s[0:1], s29, v10
	v_cndmask_b32_e64 v12, 0, -1, s[0:1]
	v_cmp_le_u32_e64 s[0:1], s28, v11
	v_cndmask_b32_e64 v11, 0, -1, s[0:1]
	v_cmp_eq_u32_e64 s[0:1], s29, v10
	v_cndmask_b32_e64 v10, v12, v11, s[0:1]
	v_add_co_u32_e64 v11, s[0:1], 2, v4
	v_addc_co_u32_e64 v12, s[0:1], 0, v9, s[0:1]
	v_add_co_u32_e64 v13, s[0:1], 1, v4
	v_addc_co_u32_e64 v14, s[0:1], 0, v9, s[0:1]
	v_subb_co_u32_e32 v8, vcc, v6, v8, vcc
	v_cmp_ne_u32_e64 s[0:1], 0, v10
	v_cmp_le_u32_e32 vcc, s29, v8
	v_cndmask_b32_e64 v10, v14, v12, s[0:1]
	v_cndmask_b32_e64 v12, 0, -1, vcc
	v_cmp_le_u32_e32 vcc, s28, v7
	v_cndmask_b32_e64 v7, 0, -1, vcc
	v_cmp_eq_u32_e32 vcc, s29, v8
	v_cndmask_b32_e32 v7, v12, v7, vcc
	v_cmp_ne_u32_e32 vcc, 0, v7
	v_cndmask_b32_e64 v7, v13, v11, s[0:1]
	v_cndmask_b32_e32 v53, v9, v10, vcc
	v_cndmask_b32_e32 v52, v4, v7, vcc
.LBB0_4:                                ;   in Loop: Header=BB0_2 Depth=1
	s_andn2_saveexec_b64 s[0:1], s[30:31]
	s_cbranch_execz .LBB0_6
; %bb.5:                                ;   in Loop: Header=BB0_2 Depth=1
	v_cvt_f32_u32_e32 v4, s28
	s_sub_i32 s30, 0, s28
	v_mov_b32_e32 v53, v3
	v_rcp_iflag_f32_e32 v4, v4
	v_mul_f32_e32 v4, 0x4f7ffffe, v4
	v_cvt_u32_f32_e32 v4, v4
	v_mul_lo_u32 v7, s30, v4
	v_mul_hi_u32 v7, v4, v7
	v_add_u32_e32 v4, v4, v7
	v_mul_hi_u32 v4, v5, v4
	v_mul_lo_u32 v7, v4, s28
	v_add_u32_e32 v8, 1, v4
	v_sub_u32_e32 v7, v5, v7
	v_subrev_u32_e32 v9, s28, v7
	v_cmp_le_u32_e32 vcc, s28, v7
	v_cndmask_b32_e32 v7, v7, v9, vcc
	v_cndmask_b32_e32 v4, v4, v8, vcc
	v_add_u32_e32 v8, 1, v4
	v_cmp_le_u32_e32 vcc, s28, v7
	v_cndmask_b32_e32 v52, v4, v8, vcc
.LBB0_6:                                ;   in Loop: Header=BB0_2 Depth=1
	s_or_b64 exec, exec, s[0:1]
	v_mul_lo_u32 v4, v53, s28
	v_mul_lo_u32 v9, v52, s29
	v_mad_u64_u32 v[7:8], s[0:1], v52, s28, 0
	s_load_dwordx2 s[0:1], s[22:23], 0x0
	s_load_dwordx2 s[28:29], s[6:7], 0x0
	v_add3_u32 v4, v8, v9, v4
	v_sub_co_u32_e32 v5, vcc, v5, v7
	v_subb_co_u32_e32 v4, vcc, v6, v4, vcc
	s_waitcnt lgkmcnt(0)
	v_mul_lo_u32 v6, s0, v4
	v_mul_lo_u32 v7, s1, v5
	v_mad_u64_u32 v[1:2], s[0:1], s0, v5, v[1:2]
	v_mul_lo_u32 v4, s28, v4
	v_mul_lo_u32 v8, s29, v5
	v_mad_u64_u32 v[50:51], s[0:1], s28, v5, v[50:51]
	s_add_u32 s26, s26, 1
	s_addc_u32 s27, s27, 0
	s_add_u32 s6, s6, 8
	v_add3_u32 v51, v8, v51, v4
	s_addc_u32 s7, s7, 0
	v_mov_b32_e32 v4, s10
	s_add_u32 s22, s22, 8
	v_mov_b32_e32 v5, s11
	s_addc_u32 s23, s23, 0
	v_cmp_ge_u64_e32 vcc, s[26:27], v[4:5]
	s_add_u32 s24, s24, 8
	v_add3_u32 v2, v7, v2, v6
	s_addc_u32 s25, s25, 0
	s_cbranch_vccnz .LBB0_9
; %bb.7:                                ;   in Loop: Header=BB0_2 Depth=1
	v_mov_b32_e32 v5, v52
	v_mov_b32_e32 v6, v53
	s_branch .LBB0_2
.LBB0_8:
	v_mov_b32_e32 v51, v2
	v_mov_b32_e32 v53, v6
	;; [unrolled: 1-line block ×4, first 2 shown]
.LBB0_9:
	s_load_dwordx2 s[0:1], s[4:5], 0x28
	s_lshl_b64 s[10:11], s[10:11], 3
	s_add_u32 s6, s18, s10
	s_addc_u32 s7, s19, s11
                                        ; implicit-def: $vgpr76
                                        ; implicit-def: $vgpr77
                                        ; implicit-def: $vgpr78
	s_waitcnt lgkmcnt(0)
	v_cmp_gt_u64_e32 vcc, s[0:1], v[52:53]
	v_cmp_le_u64_e64 s[0:1], s[0:1], v[52:53]
	s_and_saveexec_b64 s[4:5], s[0:1]
	s_xor_b64 s[0:1], exec, s[4:5]
; %bb.10:
	s_mov_b32 s4, 0x4bda130
	v_mul_hi_u32 v1, v0, s4
	v_mul_u32_u24_e32 v1, 54, v1
	v_sub_u32_e32 v76, v0, v1
	v_add_u32_e32 v77, 54, v76
	v_add_u32_e32 v78, 0x6c, v76
                                        ; implicit-def: $vgpr0
                                        ; implicit-def: $vgpr1_vgpr2
; %bb.11:
	s_or_saveexec_b64 s[4:5], s[0:1]
	s_load_dwordx2 s[6:7], s[6:7], 0x0
                                        ; implicit-def: $vgpr40_vgpr41
                                        ; implicit-def: $vgpr36_vgpr37
                                        ; implicit-def: $vgpr28_vgpr29
                                        ; implicit-def: $vgpr8_vgpr9
                                        ; implicit-def: $vgpr32_vgpr33
                                        ; implicit-def: $vgpr16_vgpr17
                                        ; implicit-def: $vgpr12_vgpr13
                                        ; implicit-def: $vgpr48_vgpr49
                                        ; implicit-def: $vgpr24_vgpr25
                                        ; implicit-def: $vgpr20_vgpr21
                                        ; implicit-def: $vgpr44_vgpr45
                                        ; implicit-def: $vgpr4_vgpr5
	s_xor_b64 exec, exec, s[4:5]
	s_cbranch_execz .LBB0_15
; %bb.12:
	s_add_u32 s0, s16, s10
	s_mov_b32 s10, 0x4bda130
	v_mul_hi_u32 v3, v0, s10
	s_addc_u32 s1, s17, s11
	s_load_dwordx2 s[0:1], s[0:1], 0x0
	v_mul_u32_u24_e32 v3, 54, v3
	v_sub_u32_e32 v76, v0, v3
	v_mad_u64_u32 v[3:4], s[10:11], s2, v76, 0
	s_waitcnt lgkmcnt(0)
	v_mul_lo_u32 v9, s1, v52
	v_mul_lo_u32 v10, s0, v53
	v_mad_u64_u32 v[5:6], s[0:1], s0, v52, 0
	v_mov_b32_e32 v0, v4
	v_mad_u64_u32 v[7:8], s[0:1], s3, v76, v[0:1]
	v_add3_u32 v6, v6, v10, v9
	v_lshlrev_b64 v[5:6], 4, v[5:6]
	v_mov_b32_e32 v4, v7
	v_mov_b32_e32 v0, s13
	v_add_co_u32_e64 v7, s[0:1], s12, v5
	v_add_u32_e32 v9, 0xb4, v76
	v_addc_co_u32_e64 v8, s[0:1], v0, v6, s[0:1]
	v_mad_u64_u32 v[5:6], s[0:1], s2, v9, 0
	v_lshlrev_b64 v[0:1], 4, v[1:2]
	v_lshlrev_b64 v[2:3], 4, v[3:4]
	v_add_co_u32_e64 v0, s[0:1], v7, v0
	v_mov_b32_e32 v4, v6
	v_addc_co_u32_e64 v1, s[0:1], v8, v1, s[0:1]
	v_mad_u64_u32 v[6:7], s[0:1], s3, v9, v[4:5]
	v_add_u32_e32 v11, 0x168, v76
	v_mad_u64_u32 v[7:8], s[0:1], s2, v11, 0
	v_add_co_u32_e64 v9, s[0:1], v0, v2
	v_mov_b32_e32 v4, v8
	v_addc_co_u32_e64 v10, s[0:1], v1, v3, s[0:1]
	v_lshlrev_b64 v[2:3], 4, v[5:6]
	v_mad_u64_u32 v[4:5], s[0:1], s3, v11, v[4:5]
	v_add_u32_e32 v77, 54, v76
	v_mad_u64_u32 v[5:6], s[0:1], s2, v77, 0
	v_add_co_u32_e64 v11, s[0:1], v0, v2
	v_mov_b32_e32 v8, v4
	v_mov_b32_e32 v4, v6
	v_addc_co_u32_e64 v12, s[0:1], v1, v3, s[0:1]
	v_lshlrev_b64 v[2:3], 4, v[7:8]
	v_mad_u64_u32 v[6:7], s[0:1], s3, v77, v[4:5]
	v_add_u32_e32 v13, 0xea, v76
	v_mad_u64_u32 v[7:8], s[0:1], s2, v13, 0
	v_add_co_u32_e64 v26, s[0:1], v0, v2
	v_mov_b32_e32 v4, v8
	v_addc_co_u32_e64 v27, s[0:1], v1, v3, s[0:1]
	v_lshlrev_b64 v[2:3], 4, v[5:6]
	v_mad_u64_u32 v[4:5], s[0:1], s3, v13, v[4:5]
	v_add_u32_e32 v13, 0x19e, v76
	v_mad_u64_u32 v[5:6], s[0:1], s2, v13, 0
	v_add_co_u32_e64 v28, s[0:1], v0, v2
	v_mov_b32_e32 v8, v4
	v_mov_b32_e32 v4, v6
	v_addc_co_u32_e64 v29, s[0:1], v1, v3, s[0:1]
	v_lshlrev_b64 v[2:3], 4, v[7:8]
	;; [unrolled: 15-line block ×3, first 2 shown]
	v_mad_u64_u32 v[6:7], s[0:1], s3, v13, v[4:5]
	v_add_u32_e32 v13, 0x1d4, v76
	v_mad_u64_u32 v[7:8], s[0:1], s2, v13, 0
	v_add_co_u32_e64 v38, s[0:1], v0, v2
	v_mov_b32_e32 v4, v8
	v_addc_co_u32_e64 v39, s[0:1], v1, v3, s[0:1]
	v_mad_u64_u32 v[13:14], s[0:1], s3, v13, v[4:5]
	v_lshlrev_b64 v[2:3], 4, v[5:6]
	v_mov_b32_e32 v8, v13
	v_add_co_u32_e64 v40, s[0:1], v0, v2
	v_lshlrev_b64 v[6:7], 4, v[7:8]
	v_addc_co_u32_e64 v41, s[0:1], v1, v3, s[0:1]
	v_add_co_u32_e64 v55, s[0:1], v0, v6
	global_load_dwordx4 v[2:5], v[9:10], off
	global_load_dwordx4 v[42:45], v[11:12], off
	v_addc_co_u32_e64 v56, s[0:1], v1, v7, s[0:1]
	global_load_dwordx4 v[18:21], v[26:27], off
	global_load_dwordx4 v[22:25], v[28:29], off
	;; [unrolled: 1-line block ×7, first 2 shown]
	v_cmp_gt_u32_e64 s[0:1], 18, v76
                                        ; implicit-def: $vgpr26_vgpr27
                                        ; implicit-def: $vgpr34_vgpr35
                                        ; implicit-def: $vgpr38_vgpr39
	s_and_saveexec_b64 s[10:11], s[0:1]
	s_cbranch_execz .LBB0_14
; %bb.13:
	v_add_u32_e32 v34, 0xa2, v76
	v_add_u32_e32 v36, 0x156, v76
	v_mad_u64_u32 v[26:27], s[0:1], s2, v34, 0
	v_mad_u64_u32 v[28:29], s[0:1], s2, v36, 0
	;; [unrolled: 1-line block ×3, first 2 shown]
	v_mov_b32_e32 v27, v34
	s_waitcnt vmcnt(1)
	v_mad_u64_u32 v[34:35], s[0:1], s3, v36, v[29:30]
	v_add_u32_e32 v35, 0x20a, v76
	v_mad_u64_u32 v[38:39], s[0:1], s2, v35, 0
	v_lshlrev_b64 v[26:27], 4, v[26:27]
	v_mov_b32_e32 v29, v34
	v_add_co_u32_e64 v40, s[0:1], v0, v26
	v_addc_co_u32_e64 v41, s[0:1], v1, v27, s[0:1]
	v_lshlrev_b64 v[26:27], 4, v[28:29]
	v_mov_b32_e32 v28, v39
	v_mad_u64_u32 v[55:56], s[0:1], s3, v35, v[28:29]
	v_add_co_u32_e64 v56, s[0:1], v0, v26
	v_mov_b32_e32 v39, v55
	v_lshlrev_b64 v[38:39], 4, v[38:39]
	v_addc_co_u32_e64 v57, s[0:1], v1, v27, s[0:1]
	v_add_co_u32_e64 v0, s[0:1], v0, v38
	v_addc_co_u32_e64 v1, s[0:1], v1, v39, s[0:1]
	global_load_dwordx4 v[26:29], v[40:41], off
	global_load_dwordx4 v[34:37], v[56:57], off
	s_nop 0
	global_load_dwordx4 v[38:41], v[0:1], off
.LBB0_14:
	s_or_b64 exec, exec, s[10:11]
.LBB0_15:
	s_or_b64 exec, exec, s[4:5]
	s_waitcnt vmcnt(6)
	v_add_f64 v[0:1], v[18:19], v[42:43]
	v_and_b32_e32 v60, 3, v54
	v_add_f64 v[54:55], v[42:43], v[2:3]
	v_add_f64 v[56:57], v[44:45], -v[20:21]
	s_mov_b32 s2, 0xe8584caa
	s_mov_b32 s3, 0xbfebb67a
	;; [unrolled: 1-line block ×4, first 2 shown]
	v_fma_f64 v[1:2], v[0:1], -0.5, v[2:3]
	s_waitcnt vmcnt(3)
	v_add_f64 v[63:64], v[10:11], v[46:47]
	v_add_f64 v[54:55], v[18:19], v[54:55]
	s_waitcnt vmcnt(0)
	v_add_f64 v[69:70], v[38:39], v[34:35]
	v_mul_u32_u24_e32 v60, 0x21c, v60
	v_mad_u32_u24 v59, v76, 24, 0
	v_lshlrev_b32_e32 v80, 3, v60
	v_add_f64 v[61:62], v[46:47], v[22:23]
	v_fma_f64 v[67:68], v[56:57], s[2:3], v[1:2]
	v_fma_f64 v[1:2], v[56:57], s[4:5], v[1:2]
	v_add_f64 v[57:58], v[6:7], v[30:31]
	v_add_u32_e32 v56, v59, v80
	v_add_f64 v[65:66], v[48:49], -v[12:13]
	v_fma_f64 v[22:23], v[63:64], -0.5, v[22:23]
	v_fma_f64 v[63:64], v[69:70], -0.5, v[26:27]
	v_add_f64 v[61:62], v[10:11], v[61:62]
	ds_write2_b64 v56, v[54:55], v[67:68] offset1:1
	ds_write_b64 v56, v[1:2] offset:16
	v_add_f64 v[1:2], v[30:31], v[14:15]
	v_fma_f64 v[14:15], v[57:58], -0.5, v[14:15]
	v_add_f64 v[54:55], v[32:33], -v[8:9]
	v_add_f64 v[67:68], v[36:37], -v[40:41]
	v_fma_f64 v[69:70], v[65:66], s[2:3], v[22:23]
	v_fma_f64 v[22:23], v[65:66], s[4:5], v[22:23]
	v_mad_i32_i24 v0, v77, 24, 0
	v_add_u32_e32 v57, v0, v80
	v_add_f64 v[65:66], v[6:7], v[1:2]
	v_mad_i32_i24 v1, v78, 24, 0
	v_fma_f64 v[71:72], v[54:55], s[2:3], v[14:15]
	v_fma_f64 v[14:15], v[54:55], s[4:5], v[14:15]
	;; [unrolled: 1-line block ×4, first 2 shown]
	v_add_u32_e32 v58, v1, v80
	v_cmp_gt_u32_e64 s[0:1], 18, v76
	ds_write2_b64 v57, v[61:62], v[69:70] offset1:1
	ds_write_b64 v57, v[22:23] offset:16
	ds_write2_b64 v58, v[65:66], v[71:72] offset1:1
	ds_write_b64 v58, v[14:15] offset:16
	s_and_saveexec_b64 s[10:11], s[0:1]
	s_cbranch_execz .LBB0_17
; %bb.16:
	v_add_f64 v[14:15], v[34:35], v[26:27]
	v_lshl_add_u32 v22, v60, 3, v59
	v_add_u32_e32 v23, 0xf30, v22
	v_add_f64 v[14:15], v[38:39], v[14:15]
	ds_write2_b64 v23, v[14:15], v[2:3] offset1:1
	ds_write_b64 v22, v[54:55] offset:3904
.LBB0_17:
	s_or_b64 exec, exec, s[10:11]
	v_add_f64 v[14:15], v[20:21], v[44:45]
	v_add_f64 v[22:23], v[44:45], v[4:5]
	;; [unrolled: 1-line block ×3, first 2 shown]
	v_add_f64 v[10:11], v[46:47], -v[10:11]
	v_add_f64 v[44:45], v[8:9], v[32:33]
	v_add_f64 v[46:47], v[40:41], v[36:37]
	v_add_f64 v[18:19], v[42:43], -v[18:19]
	v_add_f64 v[42:43], v[48:49], v[24:25]
	v_fma_f64 v[4:5], v[14:15], -0.5, v[4:5]
	v_add_f64 v[14:15], v[32:33], v[16:17]
	v_add_f64 v[6:7], v[30:31], -v[6:7]
	v_fma_f64 v[24:25], v[26:27], -0.5, v[24:25]
	v_add_f64 v[26:27], v[34:35], -v[38:39]
	v_add_f64 v[30:31], v[20:21], v[22:23]
	v_fma_f64 v[16:17], v[44:45], -0.5, v[16:17]
	v_fma_f64 v[20:21], v[46:47], -0.5, v[28:29]
	v_fma_f64 v[34:35], v[18:19], s[4:5], v[4:5]
	v_fma_f64 v[44:45], v[18:19], s[2:3], v[4:5]
	v_lshlrev_b32_e32 v5, 4, v77
	v_lshlrev_b32_e32 v4, 3, v76
	v_sub_u32_e32 v0, v0, v5
	v_add_u32_e32 v83, v0, v80
	v_lshlrev_b32_e32 v0, 4, v78
	v_add3_u32 v81, 0, v4, v80
	v_sub_u32_e32 v0, v1, v0
	v_add_u32_e32 v38, 0x800, v81
	v_add_f64 v[42:43], v[12:13], v[42:43]
	v_fma_f64 v[46:47], v[10:11], s[4:5], v[24:25]
	v_fma_f64 v[24:25], v[10:11], s[2:3], v[24:25]
	v_add_f64 v[48:49], v[8:9], v[14:15]
	v_fma_f64 v[59:60], v[6:7], s[4:5], v[16:17]
	v_fma_f64 v[61:62], v[6:7], s[2:3], v[16:17]
	;; [unrolled: 1-line block ×4, first 2 shown]
	s_waitcnt lgkmcnt(0)
	s_barrier
	v_add3_u32 v82, 0, v80, v4
	v_add_u32_e32 v84, v0, v80
	ds_read2_b64 v[16:19], v81 offset0:162 offset1:216
	ds_read2_b64 v[12:15], v38 offset0:14 offset1:68
	;; [unrolled: 1-line block ×3, first 2 shown]
	ds_read_b64 v[0:1], v82
	ds_read_b64 v[22:23], v83
	;; [unrolled: 1-line block ×3, first 2 shown]
	ds_read_b64 v[4:5], v81 offset:3888
	v_add_u32_e32 v79, 0xa2, v76
	s_waitcnt lgkmcnt(0)
	s_barrier
	ds_write2_b64 v56, v[30:31], v[34:35] offset1:1
	ds_write_b64 v56, v[44:45] offset:16
	ds_write2_b64 v57, v[42:43], v[46:47] offset1:1
	ds_write_b64 v57, v[24:25] offset:16
	ds_write2_b64 v58, v[48:49], v[59:60] offset1:1
	ds_write_b64 v58, v[61:62] offset:16
	s_and_saveexec_b64 s[2:3], s[0:1]
	s_cbranch_execz .LBB0_19
; %bb.18:
	v_add_f64 v[24:25], v[36:37], v[28:29]
	v_mul_u32_u24_e32 v26, 24, v79
	v_add3_u32 v26, 0, v26, v80
	v_add_f64 v[24:25], v[40:41], v[24:25]
	ds_write2_b64 v26, v[24:25], v[6:7] offset1:1
	ds_write_b64 v26, v[32:33] offset:16
.LBB0_19:
	s_or_b64 exec, exec, s[2:3]
	s_movk_i32 s2, 0xab
	v_mul_lo_u16_sdwa v24, v76, s2 dst_sel:DWORD dst_unused:UNUSED_PAD src0_sel:BYTE_0 src1_sel:DWORD
	v_lshrrev_b16_e32 v42, 9, v24
	v_mul_lo_u16_e32 v24, 3, v42
	v_sub_u16_e32 v39, v76, v24
	v_mov_b32_e32 v24, 9
	v_mul_u32_u24_sdwa v24, v39, v24 dst_sel:DWORD dst_unused:UNUSED_PAD src0_sel:BYTE_0 src1_sel:DWORD
	v_lshlrev_b32_e32 v24, 4, v24
	s_waitcnt lgkmcnt(0)
	s_barrier
	global_load_dwordx4 v[26:29], v24, s[8:9] offset:32
	global_load_dwordx4 v[34:37], v24, s[8:9] offset:48
	;; [unrolled: 1-line block ×4, first 2 shown]
	global_load_dwordx4 v[60:63], v24, s[8:9]
	global_load_dwordx4 v[64:67], v24, s[8:9] offset:16
	global_load_dwordx4 v[68:71], v24, s[8:9] offset:96
	;; [unrolled: 1-line block ×4, first 2 shown]
	ds_read2_b64 v[89:92], v81 offset0:162 offset1:216
	ds_read2_b64 v[93:96], v38 offset0:14 offset1:68
	ds_read_b64 v[101:102], v84
	ds_read_b64 v[103:104], v81 offset:3888
	ds_read2_b64 v[97:100], v38 offset0:122 offset1:176
	ds_read_b64 v[40:41], v83
	ds_read_b64 v[24:25], v82
	s_mov_b32 s4, 0x134454ff
	s_mov_b32 s5, 0xbfee6f0e
	;; [unrolled: 1-line block ×14, first 2 shown]
	s_waitcnt vmcnt(0) lgkmcnt(0)
	s_barrier
	v_mul_f64 v[30:31], v[89:90], v[28:29]
	v_mul_f64 v[28:29], v[16:17], v[28:29]
	;; [unrolled: 1-line block ×18, first 2 shown]
	v_fma_f64 v[16:17], v[16:17], v[26:27], v[30:31]
	v_fma_f64 v[36:37], v[89:90], v[26:27], -v[28:29]
	v_fma_f64 v[44:45], v[18:19], v[34:35], v[43:44]
	v_fma_f64 v[12:13], v[12:13], v[46:47], v[107:108]
	v_fma_f64 v[28:29], v[93:94], v[46:47], -v[48:49]
	v_fma_f64 v[48:49], v[14:15], v[56:57], v[109:110]
	v_fma_f64 v[26:27], v[95:96], v[56:57], -v[58:59]
	v_fma_f64 v[56:57], v[20:21], v[64:65], v[113:114]
	v_fma_f64 v[58:59], v[10:11], v[72:73], v[74:75]
	;; [unrolled: 1-line block ×3, first 2 shown]
	v_fma_f64 v[20:21], v[97:98], v[68:69], -v[70:71]
	v_fma_f64 v[10:11], v[4:5], v[85:86], v[119:120]
	v_fma_f64 v[4:5], v[103:104], v[85:86], -v[87:88]
	v_fma_f64 v[30:31], v[91:92], v[34:35], -v[105:106]
	v_fma_f64 v[14:15], v[22:23], v[60:61], v[111:112]
	v_fma_f64 v[40:41], v[40:41], v[60:61], -v[62:63]
	v_fma_f64 v[46:47], v[101:102], v[64:65], -v[66:67]
	v_fma_f64 v[22:23], v[99:100], v[72:73], -v[117:118]
	v_add_f64 v[18:19], v[44:45], v[48:49]
	v_add_f64 v[60:61], v[56:57], -v[44:45]
	v_add_f64 v[62:63], v[58:59], -v[48:49]
	v_add_f64 v[64:65], v[56:57], v[58:59]
	v_add_f64 v[66:67], v[44:45], -v[56:57]
	v_add_f64 v[68:69], v[48:49], -v[58:59]
	;; [unrolled: 3-line block ×3, first 2 shown]
	v_add_f64 v[109:110], v[28:29], v[20:21]
	v_add_f64 v[111:112], v[36:37], v[4:5]
	v_add_f64 v[34:35], v[46:47], -v[22:23]
	v_add_f64 v[70:71], v[14:15], v[16:17]
	v_add_f64 v[87:88], v[16:17], v[10:11]
	v_add_f64 v[89:90], v[12:13], -v[16:17]
	v_add_f64 v[91:92], v[8:9], -v[10:11]
	;; [unrolled: 1-line block ×10, first 2 shown]
	v_add_f64 v[113:114], v[0:1], v[56:57]
	v_add_f64 v[60:61], v[60:61], v[62:63]
	;; [unrolled: 1-line block ×4, first 2 shown]
	v_fma_f64 v[66:67], v[72:73], -0.5, v[14:15]
	v_fma_f64 v[18:19], v[18:19], -0.5, v[0:1]
	;; [unrolled: 1-line block ×5, first 2 shown]
	v_add_f64 v[105:106], v[28:29], -v[20:21]
	v_fma_f64 v[14:15], v[87:88], -0.5, v[14:15]
	v_add_f64 v[68:69], v[89:90], v[91:92]
	v_add_f64 v[12:13], v[70:71], v[12:13]
	;; [unrolled: 1-line block ×5, first 2 shown]
	v_fma_f64 v[89:90], v[34:35], s[4:5], v[18:19]
	v_fma_f64 v[91:92], v[101:102], s[12:13], v[0:1]
	;; [unrolled: 1-line block ×10, first 2 shown]
	v_add_f64 v[8:9], v[12:13], v[8:9]
	v_fma_f64 v[12:13], v[105:106], s[12:13], v[14:15]
	v_fma_f64 v[14:15], v[105:106], s[4:5], v[14:15]
	;; [unrolled: 1-line block ×8, first 2 shown]
	v_add_f64 v[74:75], v[87:88], v[48:49]
	v_fma_f64 v[99:100], v[103:104], s[10:11], v[72:73]
	v_fma_f64 v[18:19], v[101:102], s[16:17], v[18:19]
	v_fma_f64 v[12:13], v[107:108], s[10:11], v[12:13]
	v_fma_f64 v[14:15], v[107:108], s[16:17], v[14:15]
	v_fma_f64 v[87:88], v[60:61], s[18:19], v[89:90]
	v_fma_f64 v[89:90], v[62:63], s[18:19], v[91:92]
	v_fma_f64 v[72:73], v[70:71], s[18:19], v[66:67]
	v_fma_f64 v[66:67], v[70:71], s[18:19], v[16:17]
	v_add_f64 v[16:17], v[74:75], v[58:59]
	v_fma_f64 v[91:92], v[105:106], s[10:11], v[93:94]
	v_fma_f64 v[74:75], v[64:65], s[18:19], v[34:35]
	;; [unrolled: 1-line block ×7, first 2 shown]
	v_mul_f64 v[12:13], v[72:73], s[4:5]
	v_add_f64 v[34:35], v[8:9], v[10:11]
	v_fma_f64 v[62:63], v[68:69], s[18:19], v[14:15]
	v_fma_f64 v[68:69], v[85:86], s[18:19], v[91:92]
	v_mul_f64 v[10:11], v[74:75], s[10:11]
	v_mul_f64 v[8:9], v[66:67], s[4:5]
	v_fma_f64 v[64:65], v[85:86], s[18:19], v[93:94]
	v_mul_f64 v[14:15], v[70:71], s[10:11]
	v_fma_f64 v[12:13], v[60:61], s[18:19], v[12:13]
	v_fma_f64 v[91:92], v[68:69], s[22:23], v[10:11]
	;; [unrolled: 1-line block ×3, first 2 shown]
	s_mov_b32 s3, 0xbfe9e377
	s_mov_b32 s2, s22
	v_fma_f64 v[14:15], v[64:65], s[2:3], v[14:15]
	v_add_f64 v[93:94], v[89:90], v[12:13]
	v_add_f64 v[8:9], v[89:90], -v[12:13]
	v_add_f64 v[89:90], v[16:17], v[34:35]
	v_add_f64 v[95:96], v[87:88], v[91:92]
	;; [unrolled: 1-line block ×3, first 2 shown]
	v_add_f64 v[10:11], v[0:1], -v[85:86]
	v_add_f64 v[16:17], v[16:17], -v[34:35]
	;; [unrolled: 1-line block ×3, first 2 shown]
	v_add_f64 v[86:87], v[18:19], v[14:15]
	v_add_f64 v[0:1], v[18:19], -v[14:15]
	s_movk_i32 s2, 0xf0
	v_mov_b32_e32 v15, 3
	v_mad_u32_u24 v14, v42, s2, 0
	v_lshlrev_b32_sdwa v15, v15, v39 dst_sel:DWORD dst_unused:UNUSED_PAD src0_sel:DWORD src1_sel:BYTE_0
	v_add3_u32 v85, v14, v15, v80
	ds_write2_b64 v85, v[89:90], v[95:96] offset1:3
	ds_write2_b64 v85, v[93:94], v[12:13] offset0:6 offset1:9
	ds_write2_b64 v85, v[86:87], v[16:17] offset0:12 offset1:15
	;; [unrolled: 1-line block ×4, first 2 shown]
	s_waitcnt lgkmcnt(0)
	s_barrier
	ds_read2_b64 v[16:19], v81 offset0:90 offset1:180
	ds_read2_b64 v[12:15], v38 offset0:14 offset1:104
	ds_read_b64 v[38:39], v82
	ds_read_b64 v[42:43], v81 offset:3600
	v_cmp_gt_u32_e64 s[2:3], 36, v76
	s_and_saveexec_b64 s[24:25], s[2:3]
	s_cbranch_execz .LBB0_21
; %bb.20:
	v_add_u32_e32 v0, 0x800, v81
	ds_read2_b64 v[8:11], v81 offset0:144 offset1:234
	ds_read2_b64 v[0:3], v0 offset0:68 offset1:158
	ds_read_b64 v[34:35], v83
	ds_read_b64 v[54:55], v81 offset:4032
.LBB0_21:
	s_or_b64 exec, exec, s[24:25]
	v_add_f64 v[86:87], v[30:31], v[26:27]
	v_add_f64 v[88:89], v[46:47], v[22:23]
	;; [unrolled: 1-line block ×3, first 2 shown]
	v_add_f64 v[56:57], v[56:57], -v[58:59]
	v_add_f64 v[36:37], v[40:41], v[36:37]
	v_add_f64 v[44:45], v[44:45], -v[48:49]
	v_add_f64 v[48:49], v[46:47], -v[30:31]
	;; [unrolled: 1-line block ×3, first 2 shown]
	v_fma_f64 v[86:87], v[86:87], -0.5, v[24:25]
	v_fma_f64 v[24:25], v[88:89], -0.5, v[24:25]
	v_add_f64 v[46:47], v[30:31], -v[46:47]
	v_mul_f64 v[40:41], v[74:75], s[22:23]
	v_add_f64 v[30:31], v[90:91], v[30:31]
	v_add_f64 v[28:29], v[36:37], v[28:29]
	v_add_f64 v[88:89], v[26:27], -v[22:23]
	v_add_f64 v[36:37], v[48:49], v[58:59]
	v_fma_f64 v[74:75], v[56:57], s[12:13], v[86:87]
	v_fma_f64 v[86:87], v[56:57], s[4:5], v[86:87]
	;; [unrolled: 1-line block ×4, first 2 shown]
	v_add_f64 v[26:27], v[30:31], v[26:27]
	v_add_f64 v[20:21], v[28:29], v[20:21]
	v_mul_f64 v[72:73], v[72:73], s[18:19]
	v_add_f64 v[46:47], v[46:47], v[88:89]
	v_fma_f64 v[30:31], v[44:45], s[16:17], v[74:75]
	v_fma_f64 v[44:45], v[44:45], s[10:11], v[86:87]
	;; [unrolled: 1-line block ×4, first 2 shown]
	v_mul_f64 v[28:29], v[66:67], s[18:19]
	v_mul_f64 v[56:57], v[70:71], s[22:23]
	v_add_f64 v[22:23], v[26:27], v[22:23]
	v_add_f64 v[4:5], v[20:21], v[4:5]
	v_fma_f64 v[26:27], v[36:37], s[18:19], v[30:31]
	v_fma_f64 v[20:21], v[68:69], s[16:17], v[40:41]
	;; [unrolled: 1-line block ×6, first 2 shown]
	v_fma_f64 v[28:29], v[62:63], s[12:13], -v[28:29]
	v_fma_f64 v[46:47], v[64:65], s[16:17], -v[56:57]
	v_add_f64 v[48:49], v[22:23], v[4:5]
	v_add_f64 v[56:57], v[26:27], v[20:21]
	v_add_f64 v[64:65], v[22:23], -v[4:5]
	v_add_f64 v[36:37], v[26:27], -v[20:21]
	s_waitcnt lgkmcnt(0)
	v_add_f64 v[58:59], v[44:45], v[40:41]
	v_add_f64 v[60:61], v[24:25], v[28:29]
	;; [unrolled: 1-line block ×3, first 2 shown]
	v_add_f64 v[20:21], v[44:45], -v[40:41]
	v_add_f64 v[22:23], v[24:25], -v[28:29]
	;; [unrolled: 1-line block ×3, first 2 shown]
	v_add_u32_e32 v46, 0x800, v81
	s_barrier
	ds_write2_b64 v85, v[48:49], v[56:57] offset1:3
	ds_write2_b64 v85, v[58:59], v[60:61] offset0:6 offset1:9
	ds_write2_b64 v85, v[62:63], v[64:65] offset0:12 offset1:15
	ds_write2_b64 v85, v[36:37], v[20:21] offset0:18 offset1:21
	ds_write2_b64 v85, v[22:23], v[4:5] offset0:24 offset1:27
	s_waitcnt lgkmcnt(0)
	s_barrier
	ds_read2_b64 v[28:31], v81 offset0:90 offset1:180
	ds_read2_b64 v[24:27], v46 offset0:14 offset1:104
	ds_read_b64 v[40:41], v82
	ds_read_b64 v[44:45], v81 offset:3600
	s_and_saveexec_b64 s[4:5], s[2:3]
	s_cbranch_execz .LBB0_23
; %bb.22:
	ds_read2_b64 v[20:23], v81 offset0:144 offset1:234
	ds_read2_b64 v[4:7], v46 offset0:68 offset1:158
	ds_read_b64 v[36:37], v83
	ds_read_b64 v[32:33], v81 offset:4032
.LBB0_23:
	s_or_b64 exec, exec, s[4:5]
	v_subrev_u32_e32 v46, 30, v76
	v_cmp_gt_u32_e64 s[4:5], 30, v76
	v_cndmask_b32_e64 v74, v46, v76, s[4:5]
	v_mul_i32_i24_e32 v46, 5, v74
	v_mov_b32_e32 v47, 0
	v_lshlrev_b64 v[46:47], 4, v[46:47]
	v_mov_b32_e32 v48, s9
	v_add_co_u32_e64 v68, s[4:5], s8, v46
	v_addc_co_u32_e64 v69, s[4:5], v48, v47, s[4:5]
	global_load_dwordx4 v[46:49], v[68:69], off offset:480
	global_load_dwordx4 v[56:59], v[68:69], off offset:464
	;; [unrolled: 1-line block ×4, first 2 shown]
	s_movk_i32 s4, 0x89
	v_mul_lo_u16_sdwa v70, v77, s4 dst_sel:DWORD dst_unused:UNUSED_PAD src0_sel:BYTE_0 src1_sel:DWORD
	v_lshrrev_b16_e32 v85, 12, v70
	v_mul_lo_u16_e32 v70, 30, v85
	v_sub_u16_e32 v86, v77, v70
	v_mov_b32_e32 v70, 5
	v_mul_u32_u24_sdwa v75, v86, v70 dst_sel:DWORD dst_unused:UNUSED_PAD src0_sel:BYTE_0 src1_sel:DWORD
	global_load_dwordx4 v[70:73], v[68:69], off offset:496
	v_lshlrev_b32_e32 v68, 4, v75
	global_load_dwordx4 v[87:90], v68, s[8:9] offset:432
	global_load_dwordx4 v[91:94], v68, s[8:9] offset:448
	;; [unrolled: 1-line block ×5, first 2 shown]
	v_lshlrev_b32_e32 v124, 3, v74
	v_mov_b32_e32 v68, 0x5a0
	v_cmp_lt_u32_e64 s[4:5], 29, v76
	v_cndmask_b32_e64 v68, 0, v68, s[4:5]
	v_add_u32_e32 v123, 0, v68
	s_mov_b32 s10, 0xe8584caa
	s_mov_b32 s11, 0xbfebb67a
	;; [unrolled: 1-line block ×4, first 2 shown]
	s_movk_i32 s16, 0x5a0
	s_waitcnt vmcnt(0) lgkmcnt(0)
	s_barrier
	v_mul_f64 v[111:112], v[26:27], v[48:49]
	v_mul_f64 v[107:108], v[24:25], v[58:59]
	;; [unrolled: 1-line block ×15, first 2 shown]
	v_fma_f64 v[58:59], v[18:19], v[60:61], v[74:75]
	v_mul_f64 v[74:75], v[54:55], v[105:106]
	v_mul_f64 v[89:90], v[8:9], v[89:90]
	v_fma_f64 v[16:17], v[16:17], v[64:65], v[68:69]
	v_fma_f64 v[48:49], v[28:29], v[64:65], -v[66:67]
	v_mul_f64 v[64:65], v[6:7], v[101:102]
	v_mul_f64 v[18:19], v[32:33], v[105:106]
	v_fma_f64 v[12:13], v[12:13], v[56:57], v[107:108]
	v_fma_f64 v[56:57], v[24:25], v[56:57], -v[109:110]
	v_fma_f64 v[68:69], v[14:15], v[46:47], v[111:112]
	v_fma_f64 v[26:27], v[26:27], v[46:47], -v[113:114]
	;; [unrolled: 2-line block ×3, first 2 shown]
	v_fma_f64 v[46:47], v[22:23], v[91:92], -v[93:94]
	v_fma_f64 v[22:23], v[4:5], v[95:96], -v[97:98]
	;; [unrolled: 1-line block ×3, first 2 shown]
	v_mul_f64 v[66:67], v[2:3], v[101:102]
	v_fma_f64 v[60:61], v[30:31], v[60:61], -v[62:63]
	v_fma_f64 v[42:43], v[8:9], v[87:88], v[117:118]
	v_fma_f64 v[20:21], v[20:21], v[87:88], -v[89:90]
	v_fma_f64 v[24:25], v[10:11], v[91:92], v[119:120]
	v_fma_f64 v[0:1], v[0:1], v[95:96], v[121:122]
	;; [unrolled: 1-line block ×4, first 2 shown]
	v_add_f64 v[32:33], v[16:17], v[12:13]
	v_add_f64 v[44:45], v[12:13], v[14:15]
	;; [unrolled: 1-line block ×4, first 2 shown]
	v_fma_f64 v[6:7], v[6:7], v[99:100], -v[66:67]
	v_add_f64 v[10:11], v[58:59], v[68:69]
	v_add_f64 v[12:13], v[12:13], -v[14:15]
	v_add_f64 v[66:67], v[24:25], v[30:31]
	v_add_f64 v[70:71], v[42:43], v[0:1]
	;; [unrolled: 1-line block ×3, first 2 shown]
	v_add_f64 v[0:1], v[0:1], -v[2:3]
	v_fma_f64 v[62:63], v[62:63], -0.5, v[48:49]
	v_add_f64 v[32:33], v[32:33], v[14:15]
	v_fma_f64 v[14:15], v[44:45], -0.5, v[16:17]
	v_fma_f64 v[16:17], v[72:73], -0.5, v[20:21]
	v_add_f64 v[8:9], v[38:39], v[58:59]
	v_add_f64 v[54:55], v[56:57], -v[28:29]
	v_add_f64 v[64:65], v[34:35], v[24:25]
	v_add_f64 v[91:92], v[22:23], -v[4:5]
	v_fma_f64 v[38:39], v[10:11], -0.5, v[38:39]
	v_fma_f64 v[44:45], v[66:67], -0.5, v[34:35]
	v_add_f64 v[10:11], v[70:71], v[2:3]
	v_fma_f64 v[74:75], v[12:13], s[12:13], v[62:63]
	v_fma_f64 v[72:73], v[12:13], s[10:11], v[62:63]
	v_fma_f64 v[2:3], v[89:90], -0.5, v[42:43]
	v_fma_f64 v[70:71], v[0:1], s[12:13], v[16:17]
	v_fma_f64 v[66:67], v[0:1], s[10:11], v[16:17]
	v_add_f64 v[18:19], v[60:61], -v[26:27]
	v_add_f64 v[87:88], v[46:47], -v[6:7]
	v_add_f64 v[93:94], v[8:9], v[68:69]
	v_add_f64 v[8:9], v[64:65], v[30:31]
	v_fma_f64 v[62:63], v[54:55], s[10:11], v[14:15]
	v_fma_f64 v[64:65], v[54:55], s[12:13], v[14:15]
	v_mul_f64 v[0:1], v[74:75], s[10:11]
	v_mul_f64 v[12:13], v[72:73], s[10:11]
	v_fma_f64 v[34:35], v[91:92], s[10:11], v[2:3]
	v_fma_f64 v[54:55], v[91:92], s[12:13], v[2:3]
	v_mul_f64 v[2:3], v[70:71], s[10:11]
	v_mul_f64 v[16:17], v[66:67], s[10:11]
	v_fma_f64 v[42:43], v[18:19], s[10:11], v[38:39]
	v_fma_f64 v[38:39], v[18:19], s[12:13], v[38:39]
	v_fma_f64 v[91:92], v[62:63], 0.5, v[0:1]
	v_fma_f64 v[95:96], v[64:65], -0.5, v[12:13]
	v_fma_f64 v[14:15], v[87:88], s[10:11], v[44:45]
	v_fma_f64 v[12:13], v[87:88], s[12:13], v[44:45]
	v_fma_f64 v[18:19], v[34:35], 0.5, v[2:3]
	v_fma_f64 v[16:17], v[54:55], -0.5, v[16:17]
	v_add_f64 v[89:90], v[93:94], v[32:33]
	v_add_f64 v[44:45], v[93:94], -v[32:33]
	v_add_f64 v[0:1], v[8:9], -v[10:11]
	v_add_f64 v[93:94], v[42:43], v[91:92]
	v_add_f64 v[97:98], v[38:39], v[95:96]
	v_add_f64 v[42:43], v[42:43], -v[91:92]
	v_add_f64 v[2:3], v[14:15], -v[18:19]
	;; [unrolled: 1-line block ×4, first 2 shown]
	v_add3_u32 v87, v123, v124, v80
	ds_write2_b64 v87, v[89:90], v[93:94] offset1:30
	ds_write2_b64 v87, v[97:98], v[44:45] offset0:60 offset1:90
	ds_write2_b64 v87, v[42:43], v[38:39] offset0:120 offset1:150
	s_and_saveexec_b64 s[4:5], s[2:3]
	s_cbranch_execz .LBB0_25
; %bb.24:
	v_add_f64 v[14:15], v[14:15], v[18:19]
	v_add_f64 v[8:9], v[8:9], v[10:11]
	;; [unrolled: 1-line block ×3, first 2 shown]
	v_mov_b32_e32 v13, 3
	v_mad_u32_u24 v12, v85, s16, 0
	v_lshlrev_b32_sdwa v13, v13, v86 dst_sel:DWORD dst_unused:UNUSED_PAD src0_sel:DWORD src1_sel:BYTE_0
	v_add3_u32 v12, v12, v13, v80
	ds_write2_b64 v12, v[8:9], v[14:15] offset1:30
	ds_write2_b64 v12, v[10:11], v[0:1] offset0:60 offset1:90
	ds_write2_b64 v12, v[2:3], v[32:33] offset0:120 offset1:150
.LBB0_25:
	s_or_b64 exec, exec, s[4:5]
	v_add_u32_e32 v16, 0x800, v81
	s_waitcnt lgkmcnt(0)
	s_barrier
	ds_read2_b64 v[8:11], v81 offset0:180 offset1:234
	ds_read2_b64 v[12:15], v16 offset0:32 offset1:104
	;; [unrolled: 1-line block ×3, first 2 shown]
	ds_read_b64 v[38:39], v82
	ds_read_b64 v[42:43], v83
	;; [unrolled: 1-line block ×3, first 2 shown]
	s_and_saveexec_b64 s[4:5], s[0:1]
	s_cbranch_execz .LBB0_27
; %bb.26:
	v_add_u32_e32 v0, 0x400, v81
	ds_read2_b64 v[0:3], v0 offset0:34 offset1:214
	ds_read_b64 v[32:33], v81 offset:4176
.LBB0_27:
	s_or_b64 exec, exec, s[4:5]
	v_add_f64 v[88:89], v[60:61], v[26:27]
	v_add_f64 v[60:61], v[40:41], v[60:61]
	v_add_f64 v[58:59], v[58:59], -v[68:69]
	v_add_f64 v[48:49], v[48:49], v[56:57]
	v_add_f64 v[68:69], v[46:47], v[6:7]
	v_mul_f64 v[56:57], v[74:75], 0.5
	v_add_f64 v[24:25], v[24:25], -v[30:31]
	v_add_f64 v[30:31], v[20:21], v[22:23]
	v_fma_f64 v[40:41], v[88:89], -0.5, v[40:41]
	v_add_f64 v[60:61], v[60:61], v[26:27]
	v_mul_f64 v[26:27], v[72:73], -0.5
	v_add_f64 v[48:49], v[48:49], v[28:29]
	v_add_f64 v[28:29], v[36:37], v[46:47]
	v_fma_f64 v[36:37], v[68:69], -0.5, v[36:37]
	v_mul_f64 v[68:69], v[70:71], 0.5
	v_mul_f64 v[66:67], v[66:67], -0.5
	s_mov_b32 s4, 0xe8584caa
	s_mov_b32 s5, 0x3febb67a
	;; [unrolled: 1-line block ×4, first 2 shown]
	v_fma_f64 v[46:47], v[58:59], s[4:5], v[40:41]
	v_fma_f64 v[56:57], v[62:63], s[4:5], v[56:57]
	;; [unrolled: 1-line block ×3, first 2 shown]
	v_add_f64 v[20:21], v[28:29], v[6:7]
	v_fma_f64 v[22:23], v[24:25], s[4:5], v[36:37]
	v_fma_f64 v[24:25], v[24:25], s[10:11], v[36:37]
	v_add_f64 v[26:27], v[30:31], v[4:5]
	v_fma_f64 v[28:29], v[34:35], s[4:5], v[68:69]
	v_fma_f64 v[30:31], v[54:55], s[4:5], v[66:67]
	;; [unrolled: 1-line block ×3, first 2 shown]
	v_add_f64 v[58:59], v[60:61], v[48:49]
	v_add_f64 v[36:37], v[46:47], v[56:57]
	v_add_f64 v[48:49], v[60:61], -v[48:49]
	v_add_f64 v[46:47], v[46:47], -v[56:57]
	;; [unrolled: 1-line block ×5, first 2 shown]
	v_add_f64 v[54:55], v[40:41], v[62:63]
	v_add_f64 v[40:41], v[40:41], -v[62:63]
	s_waitcnt lgkmcnt(0)
	s_barrier
	ds_write2_b64 v87, v[58:59], v[36:37] offset1:30
	ds_write2_b64 v87, v[54:55], v[48:49] offset0:60 offset1:90
	ds_write2_b64 v87, v[46:47], v[40:41] offset0:120 offset1:150
	s_and_saveexec_b64 s[4:5], s[2:3]
	s_cbranch_execz .LBB0_29
; %bb.28:
	v_add_f64 v[20:21], v[20:21], v[26:27]
	v_add_f64 v[22:23], v[22:23], v[28:29]
	;; [unrolled: 1-line block ×3, first 2 shown]
	s_movk_i32 s2, 0x5a0
	v_mov_b32_e32 v26, 3
	v_mad_u32_u24 v27, v85, s2, 0
	v_lshlrev_b32_sdwa v26, v26, v86 dst_sel:DWORD dst_unused:UNUSED_PAD src0_sel:DWORD src1_sel:BYTE_0
	v_add3_u32 v26, v27, v26, v80
	ds_write2_b64 v26, v[20:21], v[22:23] offset1:30
	ds_write2_b64 v26, v[24:25], v[4:5] offset0:60 offset1:90
	ds_write2_b64 v26, v[6:7], v[34:35] offset0:120 offset1:150
.LBB0_29:
	s_or_b64 exec, exec, s[4:5]
	v_add_u32_e32 v28, 0x800, v81
	s_waitcnt lgkmcnt(0)
	s_barrier
	ds_read2_b64 v[20:23], v81 offset0:180 offset1:234
	ds_read2_b64 v[24:27], v28 offset0:32 offset1:104
	;; [unrolled: 1-line block ×3, first 2 shown]
	ds_read_b64 v[40:41], v82
	ds_read_b64 v[46:47], v83
	;; [unrolled: 1-line block ×3, first 2 shown]
	s_and_saveexec_b64 s[2:3], s[0:1]
	s_cbranch_execz .LBB0_31
; %bb.30:
	v_add_u32_e32 v4, 0x400, v81
	ds_read2_b64 v[4:7], v4 offset0:34 offset1:214
	ds_read_b64 v[34:35], v81 offset:4176
.LBB0_31:
	s_or_b64 exec, exec, s[2:3]
	s_and_saveexec_b64 s[2:3], vcc
	s_cbranch_execz .LBB0_34
; %bb.32:
	v_lshlrev_b32_e32 v36, 1, v78
	v_mov_b32_e32 v37, 0
	v_lshlrev_b64 v[54:55], 4, v[36:37]
	v_mov_b32_e32 v72, s9
	v_add_co_u32_e32 v62, vcc, s8, v54
	v_addc_co_u32_e32 v63, vcc, v72, v55, vcc
	v_lshlrev_b32_e32 v36, 1, v77
	global_load_dwordx4 v[54:57], v[62:63], off offset:2848
	global_load_dwordx4 v[58:61], v[62:63], off offset:2832
	v_lshlrev_b64 v[62:63], 4, v[36:37]
	v_lshlrev_b32_e32 v36, 1, v76
	v_add_co_u32_e32 v70, vcc, s8, v62
	v_addc_co_u32_e32 v71, vcc, v72, v63, vcc
	global_load_dwordx4 v[62:65], v[70:71], off offset:2848
	global_load_dwordx4 v[66:69], v[70:71], off offset:2832
	v_lshlrev_b64 v[70:71], 4, v[36:37]
	v_lshrrev_b32_e32 v36, 2, v76
	v_add_co_u32_e32 v74, vcc, s8, v70
	v_addc_co_u32_e32 v75, vcc, v72, v71, vcc
	global_load_dwordx4 v[70:73], v[74:75], off offset:2832
	global_load_dwordx4 v[80:83], v[74:75], off offset:2848
	s_mov_b32 s10, 0x16c16c17
	v_mul_hi_u32 v36, v36, s10
	v_mul_lo_u32 v84, s7, v52
	s_movk_i32 s7, 0xb4
	v_mul_lo_u32 v85, s6, v53
	v_lshrrev_b32_e32 v36, 2, v36
	v_mul_lo_u32 v36, v36, s7
	v_mad_u64_u32 v[52:53], s[2:3], s6, v52, 0
	s_mov_b32 s5, 0x3febb67a
	v_sub_u32_e32 v94, v76, v36
	v_mad_u64_u32 v[74:75], s[2:3], s20, v94, 0
	v_add3_u32 v53, v53, v85, v84
	v_lshlrev_b64 v[84:85], 4, v[52:53]
	v_mov_b32_e32 v36, v75
	v_mad_u64_u32 v[77:78], s[12:13], s21, v94, v[36:37]
	s_mov_b32 s2, 0xe8584caa
	s_mov_b32 s3, 0xbfebb67a
	v_mov_b32_e32 v75, v77
	s_mov_b32 s4, s2
	v_mov_b32_e32 v95, s15
	v_add_co_u32_e32 v36, vcc, s14, v84
	s_movk_i32 s6, 0x21c
	s_waitcnt vmcnt(5)
	v_mul_f64 v[77:78], v[18:19], v[56:57]
	s_waitcnt vmcnt(4)
	v_mul_f64 v[52:53], v[12:13], v[60:61]
	s_waitcnt lgkmcnt(4)
	v_mul_f64 v[60:61], v[24:25], v[60:61]
	s_waitcnt lgkmcnt(3)
	v_mul_f64 v[56:57], v[30:31], v[56:57]
	s_waitcnt vmcnt(3)
	v_mul_f64 v[88:89], v[16:17], v[64:65]
	s_waitcnt vmcnt(2)
	v_mul_f64 v[86:87], v[10:11], v[68:69]
	v_mul_f64 v[68:69], v[22:23], v[68:69]
	;; [unrolled: 1-line block ×3, first 2 shown]
	v_fma_f64 v[24:25], v[24:25], v[58:59], -v[52:53]
	v_fma_f64 v[30:31], v[30:31], v[54:55], -v[77:78]
	v_fma_f64 v[12:13], v[12:13], v[58:59], v[60:61]
	s_waitcnt vmcnt(1)
	v_mul_f64 v[90:91], v[8:9], v[72:73]
	s_waitcnt vmcnt(0)
	v_mul_f64 v[92:93], v[14:15], v[82:83]
	v_mul_f64 v[72:73], v[20:21], v[72:73]
	;; [unrolled: 1-line block ×3, first 2 shown]
	v_fma_f64 v[18:19], v[18:19], v[54:55], v[56:57]
	v_fma_f64 v[22:23], v[22:23], v[66:67], -v[86:87]
	v_fma_f64 v[28:29], v[28:29], v[62:63], -v[88:89]
	v_fma_f64 v[10:11], v[10:11], v[66:67], v[68:69]
	v_fma_f64 v[52:53], v[16:17], v[62:63], v[64:65]
	v_fma_f64 v[16:17], v[20:21], v[70:71], -v[90:91]
	v_fma_f64 v[20:21], v[26:27], v[80:81], -v[92:93]
	v_fma_f64 v[8:9], v[8:9], v[70:71], v[72:73]
	v_fma_f64 v[26:27], v[14:15], v[80:81], v[82:83]
	v_add_f64 v[14:15], v[24:25], v[30:31]
	s_waitcnt lgkmcnt(0)
	v_add_f64 v[56:57], v[48:49], v[24:25]
	v_add_f64 v[58:59], v[24:25], -v[30:31]
	v_add_f64 v[24:25], v[12:13], v[18:19]
	v_add_f64 v[54:55], v[12:13], -v[18:19]
	v_add_f64 v[60:61], v[44:45], v[12:13]
	v_add_f64 v[62:63], v[22:23], v[28:29]
	;; [unrolled: 1-line block ×3, first 2 shown]
	v_add_f64 v[68:69], v[22:23], -v[28:29]
	v_add_f64 v[22:23], v[10:11], v[52:53]
	v_add_f64 v[77:78], v[8:9], -v[26:27]
	v_add_f64 v[86:87], v[8:9], v[26:27]
	v_add_f64 v[8:9], v[38:39], v[8:9]
	v_add_f64 v[12:13], v[56:57], v[30:31]
	v_fma_f64 v[30:31], v[24:25], -0.5, v[44:45]
	v_add_f64 v[80:81], v[40:41], v[16:17]
	v_add_f64 v[70:71], v[42:43], v[10:11]
	;; [unrolled: 1-line block ×3, first 2 shown]
	v_add_u32_e32 v57, 0xb4, v94
	v_add_f64 v[64:65], v[10:11], -v[52:53]
	v_add_f64 v[10:11], v[60:61], v[18:19]
	v_fma_f64 v[42:43], v[22:23], -0.5, v[42:43]
	v_add_f64 v[18:19], v[8:9], v[26:27]
	v_fma_f64 v[22:23], v[58:59], s[4:5], v[30:31]
	v_fma_f64 v[26:27], v[58:59], s[2:3], v[30:31]
	v_mad_u64_u32 v[30:31], s[12:13], s20, v57, 0
	v_add_f64 v[82:83], v[16:17], -v[20:21]
	v_add_f64 v[20:21], v[80:81], v[20:21]
	v_lshlrev_b64 v[8:9], 4, v[50:51]
	v_fma_f64 v[48:49], v[14:15], -0.5, v[48:49]
	v_fma_f64 v[44:45], v[62:63], -0.5, v[46:47]
	v_add_f64 v[14:15], v[70:71], v[52:53]
	v_fma_f64 v[46:47], v[72:73], -0.5, v[40:41]
	v_fma_f64 v[52:53], v[86:87], -0.5, v[38:39]
	v_addc_co_u32_e32 v56, vcc, v95, v85, vcc
	v_add_co_u32_e32 v8, vcc, v36, v8
	v_addc_co_u32_e32 v9, vcc, v56, v9, vcc
	v_mad_u64_u32 v[56:57], s[12:13], s21, v57, v[31:32]
	v_lshlrev_b64 v[50:51], 4, v[74:75]
	v_add_f64 v[16:17], v[66:67], v[28:29]
	v_add_co_u32_e32 v50, vcc, v8, v50
	v_addc_co_u32_e32 v51, vcc, v9, v51, vcc
	v_mov_b32_e32 v31, v56
	global_store_dwordx4 v[50:51], v[18:21], off
	v_fma_f64 v[24:25], v[54:55], s[2:3], v[48:49]
	v_lshlrev_b64 v[18:19], 4, v[30:31]
	v_add_u32_e32 v31, 54, v76
	v_fma_f64 v[28:29], v[54:55], s[4:5], v[48:49]
	v_fma_f64 v[48:49], v[77:78], s[2:3], v[46:47]
	;; [unrolled: 1-line block ×5, first 2 shown]
	v_lshrrev_b32_e32 v20, 2, v31
	v_mul_hi_u32 v36, v20, s10
	v_add_u32_e32 v30, 0x168, v94
	v_mad_u64_u32 v[20:21], s[12:13], s20, v30, 0
	v_lshrrev_b32_e32 v36, 2, v36
	v_add_co_u32_e32 v18, vcc, v8, v18
	v_mul_lo_u32 v50, v36, s7
	v_addc_co_u32_e32 v19, vcc, v9, v19, vcc
	global_store_dwordx4 v[18:19], v[52:55], off
	v_mov_b32_e32 v18, v21
	v_mad_u64_u32 v[18:19], s[12:13], s21, v30, v[18:19]
	v_sub_u32_e32 v19, v31, v50
	v_mad_u64_u32 v[30:31], s[12:13], v36, s6, v[19:20]
	v_mov_b32_e32 v21, v18
	v_lshlrev_b64 v[18:19], 4, v[20:21]
	v_mad_u64_u32 v[20:21], s[12:13], s20, v30, 0
	v_add_co_u32_e32 v18, vcc, v8, v18
	v_mad_u64_u32 v[50:51], s[12:13], s21, v30, v[21:22]
	v_addc_co_u32_e32 v19, vcc, v9, v19, vcc
	v_mov_b32_e32 v21, v50
	global_store_dwordx4 v[18:19], v[46:49], off
	v_lshlrev_b64 v[18:19], 4, v[20:21]
	v_add_u32_e32 v31, 0xb4, v30
	v_add_co_u32_e32 v18, vcc, v8, v18
	v_addc_co_u32_e32 v19, vcc, v9, v19, vcc
	global_store_dwordx4 v[18:19], v[14:17], off
	v_add_u32_e32 v18, 0x6c, v76
	v_mad_u64_u32 v[51:52], s[12:13], s20, v31, 0
	v_lshrrev_b32_e32 v16, 2, v18
	v_mul_hi_u32 v19, v16, s10
	v_mov_b32_e32 v20, v52
	v_mad_u64_u32 v[20:21], s[12:13], s21, v31, v[20:21]
	v_lshrrev_b32_e32 v19, 2, v19
	v_mul_lo_u32 v21, v19, s7
	v_mov_b32_e32 v52, v20
	v_add_u32_e32 v20, 0x168, v30
	v_mad_u64_u32 v[16:17], s[10:11], s20, v20, 0
	v_sub_u32_e32 v18, v18, v21
	v_mad_u64_u32 v[18:19], s[10:11], v19, s6, v[18:19]
	v_fma_f64 v[40:41], v[64:65], s[2:3], v[44:45]
	v_fma_f64 v[44:45], v[64:65], s[4:5], v[44:45]
	;; [unrolled: 1-line block ×4, first 2 shown]
	v_mad_u64_u32 v[19:20], s[10:11], s21, v20, v[17:18]
	v_lshlrev_b64 v[14:15], 4, v[51:52]
	v_mad_u64_u32 v[20:21], s[10:11], s20, v18, 0
	v_add_co_u32_e32 v14, vcc, v8, v14
	v_addc_co_u32_e32 v15, vcc, v9, v15, vcc
	v_mov_b32_e32 v17, v19
	global_store_dwordx4 v[14:15], v[42:45], off
	v_lshlrev_b64 v[14:15], 4, v[16:17]
	v_mov_b32_e32 v16, v21
	v_mad_u64_u32 v[16:17], s[10:11], s21, v18, v[16:17]
	v_add_u32_e32 v19, 0xb4, v18
	v_add_co_u32_e32 v14, vcc, v8, v14
	v_mov_b32_e32 v21, v16
	v_mad_u64_u32 v[16:17], s[10:11], s20, v19, 0
	v_addc_co_u32_e32 v15, vcc, v9, v15, vcc
	global_store_dwordx4 v[14:15], v[38:41], off
	v_lshlrev_b64 v[14:15], 4, v[20:21]
	v_mad_u64_u32 v[19:20], s[10:11], s21, v19, v[17:18]
	v_add_u32_e32 v18, 0x168, v18
	v_mad_u64_u32 v[20:21], s[10:11], s20, v18, 0
	v_add_co_u32_e32 v14, vcc, v8, v14
	v_addc_co_u32_e32 v15, vcc, v9, v15, vcc
	global_store_dwordx4 v[14:15], v[10:13], off
	v_mov_b32_e32 v17, v19
	v_mov_b32_e32 v12, v21
	v_mad_u64_u32 v[12:13], s[10:11], s21, v18, v[12:13]
	v_lshlrev_b64 v[10:11], 4, v[16:17]
	v_add_co_u32_e32 v10, vcc, v8, v10
	v_addc_co_u32_e32 v11, vcc, v9, v11, vcc
	v_mov_b32_e32 v21, v12
	global_store_dwordx4 v[10:11], v[26:29], off
	v_lshlrev_b64 v[10:11], 4, v[20:21]
	v_add_co_u32_e32 v10, vcc, v8, v10
	v_addc_co_u32_e32 v11, vcc, v9, v11, vcc
	global_store_dwordx4 v[10:11], v[22:25], off
	v_add_u32_e32 v10, 0xa2, v76
	v_cmp_gt_u32_e32 vcc, s7, v10
	s_and_b64 exec, exec, vcc
	s_cbranch_execz .LBB0_34
; %bb.33:
	v_subrev_u32_e32 v11, 18, v76
	v_cndmask_b32_e64 v11, v11, v79, s[0:1]
	v_lshlrev_b32_e32 v36, 1, v11
	v_lshlrev_b64 v[11:12], 4, v[36:37]
	v_mov_b32_e32 v13, s9
	v_add_co_u32_e32 v19, vcc, s8, v11
	v_addc_co_u32_e32 v20, vcc, v13, v12, vcc
	global_load_dwordx4 v[11:14], v[19:20], off offset:2832
	global_load_dwordx4 v[15:18], v[19:20], off offset:2848
	v_add_u32_e32 v30, 0x156, v76
	v_mad_u64_u32 v[19:20], s[0:1], s20, v10, 0
	v_mad_u64_u32 v[21:22], s[0:1], s20, v30, 0
	v_add_u32_e32 v36, 0x20a, v76
	v_mad_u64_u32 v[23:24], s[0:1], s20, v36, 0
	v_mad_u64_u32 v[25:26], s[0:1], s21, v10, v[20:21]
	v_mov_b32_e32 v10, v22
	v_mov_b32_e32 v20, v24
	s_waitcnt vmcnt(1)
	v_mul_f64 v[26:27], v[6:7], v[13:14]
	v_mul_f64 v[13:14], v[2:3], v[13:14]
	s_waitcnt vmcnt(0)
	v_mul_f64 v[28:29], v[34:35], v[17:18]
	v_mul_f64 v[17:18], v[32:33], v[17:18]
	v_mad_u64_u32 v[30:31], s[0:1], s21, v30, v[10:11]
	v_fma_f64 v[2:3], v[2:3], v[11:12], v[26:27]
	v_fma_f64 v[6:7], v[6:7], v[11:12], -v[13:14]
	v_fma_f64 v[10:11], v[32:33], v[15:16], v[28:29]
	v_fma_f64 v[12:13], v[34:35], v[15:16], -v[17:18]
	v_mad_u64_u32 v[14:15], s[0:1], s21, v36, v[20:21]
	v_mov_b32_e32 v20, v25
	v_lshlrev_b64 v[15:16], 4, v[19:20]
	v_add_f64 v[25:26], v[0:1], v[2:3]
	v_mov_b32_e32 v22, v30
	v_add_f64 v[17:18], v[2:3], v[10:11]
	v_add_f64 v[19:20], v[6:7], v[12:13]
	v_add_f64 v[27:28], v[6:7], -v[12:13]
	v_add_f64 v[6:7], v[4:5], v[6:7]
	v_add_f64 v[29:30], v[2:3], -v[10:11]
	v_mov_b32_e32 v24, v14
	v_lshlrev_b64 v[21:22], 4, v[21:22]
	v_add_co_u32_e32 v14, vcc, v8, v15
	v_fma_f64 v[17:18], v[17:18], -0.5, v[0:1]
	v_fma_f64 v[19:20], v[19:20], -0.5, v[4:5]
	v_add_f64 v[0:1], v[25:26], v[10:11]
	v_add_f64 v[2:3], v[6:7], v[12:13]
	v_addc_co_u32_e32 v15, vcc, v9, v16, vcc
	v_lshlrev_b64 v[23:24], 4, v[23:24]
	v_add_co_u32_e32 v16, vcc, v8, v21
	v_fma_f64 v[4:5], v[27:28], s[2:3], v[17:18]
	v_fma_f64 v[6:7], v[29:30], s[4:5], v[19:20]
	;; [unrolled: 1-line block ×4, first 2 shown]
	v_addc_co_u32_e32 v17, vcc, v9, v22, vcc
	v_add_co_u32_e32 v8, vcc, v8, v23
	v_addc_co_u32_e32 v9, vcc, v9, v24, vcc
	global_store_dwordx4 v[14:15], v[0:3], off
	global_store_dwordx4 v[16:17], v[4:7], off
	;; [unrolled: 1-line block ×3, first 2 shown]
.LBB0_34:
	s_endpgm
	.section	.rodata,"a",@progbits
	.p2align	6, 0x0
	.amdhsa_kernel fft_rtc_back_len540_factors_3_10_6_3_wgs_216_tpt_54_halfLds_dp_op_CI_CI_sbrr_dirReg
		.amdhsa_group_segment_fixed_size 0
		.amdhsa_private_segment_fixed_size 0
		.amdhsa_kernarg_size 104
		.amdhsa_user_sgpr_count 6
		.amdhsa_user_sgpr_private_segment_buffer 1
		.amdhsa_user_sgpr_dispatch_ptr 0
		.amdhsa_user_sgpr_queue_ptr 0
		.amdhsa_user_sgpr_kernarg_segment_ptr 1
		.amdhsa_user_sgpr_dispatch_id 0
		.amdhsa_user_sgpr_flat_scratch_init 0
		.amdhsa_user_sgpr_private_segment_size 0
		.amdhsa_uses_dynamic_stack 0
		.amdhsa_system_sgpr_private_segment_wavefront_offset 0
		.amdhsa_system_sgpr_workgroup_id_x 1
		.amdhsa_system_sgpr_workgroup_id_y 0
		.amdhsa_system_sgpr_workgroup_id_z 0
		.amdhsa_system_sgpr_workgroup_info 0
		.amdhsa_system_vgpr_workitem_id 0
		.amdhsa_next_free_vgpr 125
		.amdhsa_next_free_sgpr 32
		.amdhsa_reserve_vcc 1
		.amdhsa_reserve_flat_scratch 0
		.amdhsa_float_round_mode_32 0
		.amdhsa_float_round_mode_16_64 0
		.amdhsa_float_denorm_mode_32 3
		.amdhsa_float_denorm_mode_16_64 3
		.amdhsa_dx10_clamp 1
		.amdhsa_ieee_mode 1
		.amdhsa_fp16_overflow 0
		.amdhsa_exception_fp_ieee_invalid_op 0
		.amdhsa_exception_fp_denorm_src 0
		.amdhsa_exception_fp_ieee_div_zero 0
		.amdhsa_exception_fp_ieee_overflow 0
		.amdhsa_exception_fp_ieee_underflow 0
		.amdhsa_exception_fp_ieee_inexact 0
		.amdhsa_exception_int_div_zero 0
	.end_amdhsa_kernel
	.text
.Lfunc_end0:
	.size	fft_rtc_back_len540_factors_3_10_6_3_wgs_216_tpt_54_halfLds_dp_op_CI_CI_sbrr_dirReg, .Lfunc_end0-fft_rtc_back_len540_factors_3_10_6_3_wgs_216_tpt_54_halfLds_dp_op_CI_CI_sbrr_dirReg
                                        ; -- End function
	.section	.AMDGPU.csdata,"",@progbits
; Kernel info:
; codeLenInByte = 8588
; NumSgprs: 36
; NumVgprs: 125
; ScratchSize: 0
; MemoryBound: 1
; FloatMode: 240
; IeeeMode: 1
; LDSByteSize: 0 bytes/workgroup (compile time only)
; SGPRBlocks: 4
; VGPRBlocks: 31
; NumSGPRsForWavesPerEU: 36
; NumVGPRsForWavesPerEU: 125
; Occupancy: 2
; WaveLimiterHint : 1
; COMPUTE_PGM_RSRC2:SCRATCH_EN: 0
; COMPUTE_PGM_RSRC2:USER_SGPR: 6
; COMPUTE_PGM_RSRC2:TRAP_HANDLER: 0
; COMPUTE_PGM_RSRC2:TGID_X_EN: 1
; COMPUTE_PGM_RSRC2:TGID_Y_EN: 0
; COMPUTE_PGM_RSRC2:TGID_Z_EN: 0
; COMPUTE_PGM_RSRC2:TIDIG_COMP_CNT: 0
	.type	__hip_cuid_d97250b4dbe3a998,@object ; @__hip_cuid_d97250b4dbe3a998
	.section	.bss,"aw",@nobits
	.globl	__hip_cuid_d97250b4dbe3a998
__hip_cuid_d97250b4dbe3a998:
	.byte	0                               ; 0x0
	.size	__hip_cuid_d97250b4dbe3a998, 1

	.ident	"AMD clang version 19.0.0git (https://github.com/RadeonOpenCompute/llvm-project roc-6.4.0 25133 c7fe45cf4b819c5991fe208aaa96edf142730f1d)"
	.section	".note.GNU-stack","",@progbits
	.addrsig
	.addrsig_sym __hip_cuid_d97250b4dbe3a998
	.amdgpu_metadata
---
amdhsa.kernels:
  - .args:
      - .actual_access:  read_only
        .address_space:  global
        .offset:         0
        .size:           8
        .value_kind:     global_buffer
      - .offset:         8
        .size:           8
        .value_kind:     by_value
      - .actual_access:  read_only
        .address_space:  global
        .offset:         16
        .size:           8
        .value_kind:     global_buffer
      - .actual_access:  read_only
        .address_space:  global
        .offset:         24
        .size:           8
        .value_kind:     global_buffer
      - .actual_access:  read_only
        .address_space:  global
        .offset:         32
        .size:           8
        .value_kind:     global_buffer
      - .offset:         40
        .size:           8
        .value_kind:     by_value
      - .actual_access:  read_only
        .address_space:  global
        .offset:         48
        .size:           8
        .value_kind:     global_buffer
      - .actual_access:  read_only
        .address_space:  global
        .offset:         56
        .size:           8
        .value_kind:     global_buffer
      - .offset:         64
        .size:           4
        .value_kind:     by_value
      - .actual_access:  read_only
        .address_space:  global
        .offset:         72
        .size:           8
        .value_kind:     global_buffer
      - .actual_access:  read_only
        .address_space:  global
        .offset:         80
        .size:           8
        .value_kind:     global_buffer
      - .actual_access:  read_only
        .address_space:  global
        .offset:         88
        .size:           8
        .value_kind:     global_buffer
      - .actual_access:  write_only
        .address_space:  global
        .offset:         96
        .size:           8
        .value_kind:     global_buffer
    .group_segment_fixed_size: 0
    .kernarg_segment_align: 8
    .kernarg_segment_size: 104
    .language:       OpenCL C
    .language_version:
      - 2
      - 0
    .max_flat_workgroup_size: 216
    .name:           fft_rtc_back_len540_factors_3_10_6_3_wgs_216_tpt_54_halfLds_dp_op_CI_CI_sbrr_dirReg
    .private_segment_fixed_size: 0
    .sgpr_count:     36
    .sgpr_spill_count: 0
    .symbol:         fft_rtc_back_len540_factors_3_10_6_3_wgs_216_tpt_54_halfLds_dp_op_CI_CI_sbrr_dirReg.kd
    .uniform_work_group_size: 1
    .uses_dynamic_stack: false
    .vgpr_count:     125
    .vgpr_spill_count: 0
    .wavefront_size: 64
amdhsa.target:   amdgcn-amd-amdhsa--gfx906
amdhsa.version:
  - 1
  - 2
...

	.end_amdgpu_metadata
